;; amdgpu-corpus repo=ROCm/rocBLAS kind=compiled arch=gfx1030 opt=O3
	.amdgcn_target "amdgcn-amd-amdhsa--gfx1030"
	.amdhsa_code_object_version 6
	.section	.text._ZL19rocblas_spr2_kernelILi128ELi8ELi2E24rocblas_internal_val_ptrIfEPKfPfEvbbiT2_T3_lllS6_lllT4_lli,"axG",@progbits,_ZL19rocblas_spr2_kernelILi128ELi8ELi2E24rocblas_internal_val_ptrIfEPKfPfEvbbiT2_T3_lllS6_lllT4_lli,comdat
	.globl	_ZL19rocblas_spr2_kernelILi128ELi8ELi2E24rocblas_internal_val_ptrIfEPKfPfEvbbiT2_T3_lllS6_lllT4_lli ; -- Begin function _ZL19rocblas_spr2_kernelILi128ELi8ELi2E24rocblas_internal_val_ptrIfEPKfPfEvbbiT2_T3_lllS6_lllT4_lli
	.p2align	8
	.type	_ZL19rocblas_spr2_kernelILi128ELi8ELi2E24rocblas_internal_val_ptrIfEPKfPfEvbbiT2_T3_lllS6_lllT4_lli,@function
_ZL19rocblas_spr2_kernelILi128ELi8ELi2E24rocblas_internal_val_ptrIfEPKfPfEvbbiT2_T3_lllS6_lllT4_lli: ; @_ZL19rocblas_spr2_kernelILi128ELi8ELi2E24rocblas_internal_val_ptrIfEPKfPfEvbbiT2_T3_lllS6_lllT4_lli
; %bb.0:
	s_clause 0x1
	s_load_dword s0, s[4:5], 0x0
	s_load_dwordx16 s[12:27], s[4:5], 0x8
	s_waitcnt lgkmcnt(0)
	s_bitcmp0_b32 s0, 0
	s_mov_b32 s0, 0
	s_cbranch_scc0 .LBB0_2
; %bb.1:
	s_load_dword s9, s[12:13], 0x0
	s_andn2_b32 vcc_lo, exec_lo, s0
	s_cbranch_vccz .LBB0_3
	s_branch .LBB0_4
.LBB0_2:
                                        ; implicit-def: $sgpr9
.LBB0_3:
	s_waitcnt lgkmcnt(0)
	s_mov_b32 s9, s12
.LBB0_4:
	s_waitcnt lgkmcnt(0)
	v_cmp_eq_f32_e64 s0, s9, 0
	s_and_b32 vcc_lo, exec_lo, s0
	s_cbranch_vccnz .LBB0_22
; %bb.5:
	s_load_dwordx2 s[2:3], s[4:5], 0x0
	v_lshl_add_u32 v7, s6, 8, v0
	v_lshl_add_u32 v2, s7, 3, v1
                                        ; implicit-def: $vgpr0
	s_waitcnt lgkmcnt(0)
	s_bitcmp1_b32 s2, 8
	s_cselect_b32 s0, -1, 0
	s_xor_b32 s2, s0, -1
	s_mov_b32 s0, -1
	s_and_b32 vcc_lo, exec_lo, s2
	s_cbranch_vccz .LBB0_7
; %bb.6:
	s_lshl_b32 s0, s3, 1
	v_sub_nc_u32_e32 v0, s0, v2
	s_mov_b32 s0, 0
	v_mad_u64_u32 v[0:1], null, v2, v0, v[2:3]
	v_lshrrev_b32_e32 v1, 31, v0
	v_add_nc_u32_e32 v0, v0, v1
	v_sub_nc_u32_e32 v1, v7, v2
	v_ashrrev_i32_e32 v0, 1, v0
	v_add_nc_u32_e32 v0, v1, v0
.LBB0_7:
	s_andn2_b32 vcc_lo, exec_lo, s0
	s_cbranch_vccnz .LBB0_9
; %bb.8:
	v_mad_u64_u32 v[0:1], null, v2, v2, v[2:3]
	v_lshrrev_b32_e32 v1, 31, v0
	v_add_nc_u32_e32 v0, v0, v1
	v_ashrrev_i32_e32 v0, 1, v0
	v_add_nc_u32_e32 v0, v0, v7
.LBB0_9:
	s_load_dwordx8 s[36:43], s[4:5], 0x48
	v_ashrrev_i32_e32 v1, 31, v2
	s_mul_i32 s1, s21, s8
	s_mul_hi_u32 s7, s20, s8
	v_mul_lo_u32 v8, s27, v2
	v_mad_u64_u32 v[3:4], null, s26, v2, 0
	v_mul_lo_u32 v9, s19, v2
	v_mul_lo_u32 v10, s26, v1
	v_mad_u64_u32 v[5:6], null, s18, v2, 0
	v_mul_lo_u32 v1, s18, v1
	s_mul_i32 s6, s20, s8
	v_cmp_le_i32_e64 s0, s3, v2
	v_add3_u32 v4, v4, v10, v8
	v_add3_u32 v6, v6, v1, v9
	s_waitcnt lgkmcnt(0)
	s_mul_i32 s5, s43, s8
	s_mul_hi_u32 s10, s42, s8
	s_mul_i32 s4, s42, s8
	s_add_i32 s5, s10, s5
	v_lshlrev_b64 v[3:4], 2, v[3:4]
	s_lshl_b64 s[4:5], s[4:5], 2
	v_lshlrev_b64 v[5:6], 2, v[5:6]
	s_add_u32 s10, s38, s4
	s_addc_u32 s11, s39, s5
	s_lshl_b64 s[4:5], s[40:41], 2
	s_add_u32 s4, s10, s4
	s_addc_u32 s5, s11, s5
	s_add_i32 s7, s7, s1
	s_mul_i32 s1, s37, s8
	s_lshl_b64 s[6:7], s[6:7], 2
	s_mul_hi_u32 s11, s36, s8
	s_add_u32 s12, s14, s6
	s_addc_u32 s13, s15, s7
	s_lshl_b64 s[6:7], s[16:17], 2
	s_mul_i32 s10, s36, s8
	s_add_u32 s6, s12, s6
	s_addc_u32 s7, s13, s7
	s_add_i32 s11, s11, s1
	s_lshl_b64 s[10:11], s[10:11], 2
	s_add_u32 s1, s22, s10
	s_addc_u32 s12, s23, s11
	s_lshl_b64 s[10:11], s[24:25], 2
	s_add_u32 s8, s1, s10
	s_addc_u32 s10, s12, s11
	s_and_b32 vcc_lo, exec_lo, s2
	s_cbranch_vccz .LBB0_11
; %bb.10:
	v_cmp_gt_i32_e32 vcc_lo, s3, v7
	v_cmp_ge_i32_e64 s1, v7, v2
	s_and_b32 s11, s1, vcc_lo
	s_mov_b32 s1, 0
	s_and_b32 s11, s11, exec_lo
	s_branch .LBB0_12
.LBB0_11:
	s_mov_b32 s1, -1
	s_mov_b32 s11, 0
.LBB0_12:
	v_add_co_u32 v3, vcc_lo, s8, v3
	v_add_co_ci_u32_e64 v4, null, s10, v4, vcc_lo
	v_add_co_u32 v5, vcc_lo, s6, v5
	v_add_co_ci_u32_e64 v6, null, s7, v6, vcc_lo
	s_andn2_b32 vcc_lo, exec_lo, s1
	s_cbranch_vccz .LBB0_16
; %bb.13:
	v_ashrrev_i32_e32 v1, 31, v0
	s_and_saveexec_b32 s1, s11
	s_cbranch_execnz .LBB0_17
.LBB0_14:
	s_or_b32 exec_lo, exec_lo, s1
	v_add_nc_u32_e32 v7, 0x80, v7
	s_andn2_b32 vcc_lo, exec_lo, s2
	s_cbranch_vccnz .LBB0_18
.LBB0_15:
	v_cmp_gt_i32_e32 vcc_lo, s3, v7
	v_cmp_le_i32_e64 s1, v2, v7
	s_and_b32 s1, s1, vcc_lo
	s_and_b32 s1, s1, exec_lo
	s_cbranch_execz .LBB0_19
	s_branch .LBB0_20
.LBB0_16:
	v_cmp_le_i32_e32 vcc_lo, v7, v2
	s_xor_b32 s1, s0, -1
	s_andn2_b32 s11, s11, exec_lo
	s_and_b32 s1, vcc_lo, s1
	s_and_b32 s1, s1, exec_lo
	s_or_b32 s11, s11, s1
	v_ashrrev_i32_e32 v1, 31, v0
	s_and_saveexec_b32 s1, s11
	s_cbranch_execz .LBB0_14
.LBB0_17:
	v_ashrrev_i32_e32 v12, 31, v7
	v_mul_lo_u32 v13, s27, v7
	v_mad_u64_u32 v[8:9], null, s26, v7, 0
	v_mul_lo_u32 v15, s19, v7
	v_mul_lo_u32 v14, s26, v12
	v_mad_u64_u32 v[10:11], null, s18, v7, 0
	v_mul_lo_u32 v12, s18, v12
	v_add3_u32 v9, v9, v14, v13
	v_add3_u32 v11, v11, v12, v15
	v_lshlrev_b64 v[8:9], 2, v[8:9]
	v_lshlrev_b64 v[10:11], 2, v[10:11]
	v_add_co_u32 v8, vcc_lo, s8, v8
	v_add_co_ci_u32_e64 v9, null, s10, v9, vcc_lo
	v_add_co_u32 v10, vcc_lo, s6, v10
	v_add_co_ci_u32_e64 v11, null, s7, v11, vcc_lo
	global_load_dword v12, v[8:9], off
	v_lshlrev_b64 v[8:9], 2, v[0:1]
	s_clause 0x1
	global_load_dword v10, v[10:11], off
	global_load_dword v11, v[5:6], off
	global_load_dword v13, v[3:4], off
	v_add_co_u32 v8, vcc_lo, s4, v8
	v_add_co_ci_u32_e64 v9, null, s5, v9, vcc_lo
	global_load_dword v14, v[8:9], off
	s_waitcnt vmcnt(4)
	v_mul_f32_e32 v12, s9, v12
	s_waitcnt vmcnt(3)
	v_mul_f32_e32 v10, s9, v10
	;; [unrolled: 2-line block ×3, first 2 shown]
	s_waitcnt vmcnt(1)
	v_fmac_f32_e32 v11, v10, v13
	s_waitcnt vmcnt(0)
	v_add_f32_e32 v10, v14, v11
	global_store_dword v[8:9], v10, off
	s_or_b32 exec_lo, exec_lo, s1
	v_add_nc_u32_e32 v7, 0x80, v7
	s_andn2_b32 vcc_lo, exec_lo, s2
	s_cbranch_vccz .LBB0_15
.LBB0_18:
	s_mov_b32 s1, 0
.LBB0_19:
	v_cmp_le_i32_e32 vcc_lo, v7, v2
	s_xor_b32 s0, s0, -1
	s_andn2_b32 s1, s1, exec_lo
	s_and_b32 s0, s0, vcc_lo
	s_and_b32 s0, s0, exec_lo
	s_or_b32 s1, s1, s0
.LBB0_20:
	s_and_saveexec_b32 s0, s1
	s_cbranch_execz .LBB0_22
; %bb.21:
	v_ashrrev_i32_e32 v2, 31, v7
	v_mul_lo_u32 v12, s27, v7
	v_mad_u64_u32 v[8:9], null, s26, v7, 0
	v_mul_lo_u32 v14, s19, v7
	v_mul_lo_u32 v13, s26, v2
	v_mad_u64_u32 v[10:11], null, s18, v7, 0
	v_mul_lo_u32 v2, s18, v2
	v_lshlrev_b64 v[0:1], 2, v[0:1]
	v_add3_u32 v9, v9, v13, v12
	v_add3_u32 v11, v11, v2, v14
	v_lshlrev_b64 v[7:8], 2, v[8:9]
	v_lshlrev_b64 v[9:10], 2, v[10:11]
	v_add_co_u32 v7, vcc_lo, s8, v7
	v_add_co_ci_u32_e64 v8, null, s10, v8, vcc_lo
	v_add_co_u32 v9, vcc_lo, s6, v9
	v_add_co_ci_u32_e64 v10, null, s7, v10, vcc_lo
	global_load_dword v2, v[7:8], off
	s_clause 0x1
	global_load_dword v7, v[9:10], off
	global_load_dword v5, v[5:6], off
	;; [unrolled: 1-line block ×3, first 2 shown]
	v_add_co_u32 v0, vcc_lo, s4, v0
	v_add_co_ci_u32_e64 v1, null, s5, v1, vcc_lo
	global_load_dword v4, v[0:1], off offset:512
	s_waitcnt vmcnt(4)
	v_mul_f32_e32 v2, s9, v2
	s_waitcnt vmcnt(3)
	v_mul_f32_e32 v6, s9, v7
	;; [unrolled: 2-line block ×3, first 2 shown]
	s_waitcnt vmcnt(1)
	v_fmac_f32_e32 v2, v6, v3
	s_waitcnt vmcnt(0)
	v_add_f32_e32 v2, v4, v2
	global_store_dword v[0:1], v2, off offset:512
.LBB0_22:
	s_endpgm
	.section	.rodata,"a",@progbits
	.p2align	6, 0x0
	.amdhsa_kernel _ZL19rocblas_spr2_kernelILi128ELi8ELi2E24rocblas_internal_val_ptrIfEPKfPfEvbbiT2_T3_lllS6_lllT4_lli
		.amdhsa_group_segment_fixed_size 0
		.amdhsa_private_segment_fixed_size 0
		.amdhsa_kernarg_size 108
		.amdhsa_user_sgpr_count 6
		.amdhsa_user_sgpr_private_segment_buffer 1
		.amdhsa_user_sgpr_dispatch_ptr 0
		.amdhsa_user_sgpr_queue_ptr 0
		.amdhsa_user_sgpr_kernarg_segment_ptr 1
		.amdhsa_user_sgpr_dispatch_id 0
		.amdhsa_user_sgpr_flat_scratch_init 0
		.amdhsa_user_sgpr_private_segment_size 0
		.amdhsa_wavefront_size32 1
		.amdhsa_uses_dynamic_stack 0
		.amdhsa_system_sgpr_private_segment_wavefront_offset 0
		.amdhsa_system_sgpr_workgroup_id_x 1
		.amdhsa_system_sgpr_workgroup_id_y 1
		.amdhsa_system_sgpr_workgroup_id_z 1
		.amdhsa_system_sgpr_workgroup_info 0
		.amdhsa_system_vgpr_workitem_id 1
		.amdhsa_next_free_vgpr 16
		.amdhsa_next_free_sgpr 44
		.amdhsa_reserve_vcc 1
		.amdhsa_reserve_flat_scratch 0
		.amdhsa_float_round_mode_32 0
		.amdhsa_float_round_mode_16_64 0
		.amdhsa_float_denorm_mode_32 3
		.amdhsa_float_denorm_mode_16_64 3
		.amdhsa_dx10_clamp 1
		.amdhsa_ieee_mode 1
		.amdhsa_fp16_overflow 0
		.amdhsa_workgroup_processor_mode 1
		.amdhsa_memory_ordered 1
		.amdhsa_forward_progress 1
		.amdhsa_shared_vgpr_count 0
		.amdhsa_exception_fp_ieee_invalid_op 0
		.amdhsa_exception_fp_denorm_src 0
		.amdhsa_exception_fp_ieee_div_zero 0
		.amdhsa_exception_fp_ieee_overflow 0
		.amdhsa_exception_fp_ieee_underflow 0
		.amdhsa_exception_fp_ieee_inexact 0
		.amdhsa_exception_int_div_zero 0
	.end_amdhsa_kernel
	.section	.text._ZL19rocblas_spr2_kernelILi128ELi8ELi2E24rocblas_internal_val_ptrIfEPKfPfEvbbiT2_T3_lllS6_lllT4_lli,"axG",@progbits,_ZL19rocblas_spr2_kernelILi128ELi8ELi2E24rocblas_internal_val_ptrIfEPKfPfEvbbiT2_T3_lllS6_lllT4_lli,comdat
.Lfunc_end0:
	.size	_ZL19rocblas_spr2_kernelILi128ELi8ELi2E24rocblas_internal_val_ptrIfEPKfPfEvbbiT2_T3_lllS6_lllT4_lli, .Lfunc_end0-_ZL19rocblas_spr2_kernelILi128ELi8ELi2E24rocblas_internal_val_ptrIfEPKfPfEvbbiT2_T3_lllS6_lllT4_lli
                                        ; -- End function
	.set _ZL19rocblas_spr2_kernelILi128ELi8ELi2E24rocblas_internal_val_ptrIfEPKfPfEvbbiT2_T3_lllS6_lllT4_lli.num_vgpr, 16
	.set _ZL19rocblas_spr2_kernelILi128ELi8ELi2E24rocblas_internal_val_ptrIfEPKfPfEvbbiT2_T3_lllS6_lllT4_lli.num_agpr, 0
	.set _ZL19rocblas_spr2_kernelILi128ELi8ELi2E24rocblas_internal_val_ptrIfEPKfPfEvbbiT2_T3_lllS6_lllT4_lli.numbered_sgpr, 44
	.set _ZL19rocblas_spr2_kernelILi128ELi8ELi2E24rocblas_internal_val_ptrIfEPKfPfEvbbiT2_T3_lllS6_lllT4_lli.num_named_barrier, 0
	.set _ZL19rocblas_spr2_kernelILi128ELi8ELi2E24rocblas_internal_val_ptrIfEPKfPfEvbbiT2_T3_lllS6_lllT4_lli.private_seg_size, 0
	.set _ZL19rocblas_spr2_kernelILi128ELi8ELi2E24rocblas_internal_val_ptrIfEPKfPfEvbbiT2_T3_lllS6_lllT4_lli.uses_vcc, 1
	.set _ZL19rocblas_spr2_kernelILi128ELi8ELi2E24rocblas_internal_val_ptrIfEPKfPfEvbbiT2_T3_lllS6_lllT4_lli.uses_flat_scratch, 0
	.set _ZL19rocblas_spr2_kernelILi128ELi8ELi2E24rocblas_internal_val_ptrIfEPKfPfEvbbiT2_T3_lllS6_lllT4_lli.has_dyn_sized_stack, 0
	.set _ZL19rocblas_spr2_kernelILi128ELi8ELi2E24rocblas_internal_val_ptrIfEPKfPfEvbbiT2_T3_lllS6_lllT4_lli.has_recursion, 0
	.set _ZL19rocblas_spr2_kernelILi128ELi8ELi2E24rocblas_internal_val_ptrIfEPKfPfEvbbiT2_T3_lllS6_lllT4_lli.has_indirect_call, 0
	.section	.AMDGPU.csdata,"",@progbits
; Kernel info:
; codeLenInByte = 1136
; TotalNumSgprs: 46
; NumVgprs: 16
; ScratchSize: 0
; MemoryBound: 0
; FloatMode: 240
; IeeeMode: 1
; LDSByteSize: 0 bytes/workgroup (compile time only)
; SGPRBlocks: 0
; VGPRBlocks: 1
; NumSGPRsForWavesPerEU: 46
; NumVGPRsForWavesPerEU: 16
; Occupancy: 16
; WaveLimiterHint : 0
; COMPUTE_PGM_RSRC2:SCRATCH_EN: 0
; COMPUTE_PGM_RSRC2:USER_SGPR: 6
; COMPUTE_PGM_RSRC2:TRAP_HANDLER: 0
; COMPUTE_PGM_RSRC2:TGID_X_EN: 1
; COMPUTE_PGM_RSRC2:TGID_Y_EN: 1
; COMPUTE_PGM_RSRC2:TGID_Z_EN: 1
; COMPUTE_PGM_RSRC2:TIDIG_COMP_CNT: 1
	.section	.text._ZL19rocblas_spr2_kernelILi128ELi8ELi1E24rocblas_internal_val_ptrIdEPKdPdEvbbiT2_T3_lllS6_lllT4_lli,"axG",@progbits,_ZL19rocblas_spr2_kernelILi128ELi8ELi1E24rocblas_internal_val_ptrIdEPKdPdEvbbiT2_T3_lllS6_lllT4_lli,comdat
	.globl	_ZL19rocblas_spr2_kernelILi128ELi8ELi1E24rocblas_internal_val_ptrIdEPKdPdEvbbiT2_T3_lllS6_lllT4_lli ; -- Begin function _ZL19rocblas_spr2_kernelILi128ELi8ELi1E24rocblas_internal_val_ptrIdEPKdPdEvbbiT2_T3_lllS6_lllT4_lli
	.p2align	8
	.type	_ZL19rocblas_spr2_kernelILi128ELi8ELi1E24rocblas_internal_val_ptrIdEPKdPdEvbbiT2_T3_lllS6_lllT4_lli,@function
_ZL19rocblas_spr2_kernelILi128ELi8ELi1E24rocblas_internal_val_ptrIdEPKdPdEvbbiT2_T3_lllS6_lllT4_lli: ; @_ZL19rocblas_spr2_kernelILi128ELi8ELi1E24rocblas_internal_val_ptrIdEPKdPdEvbbiT2_T3_lllS6_lllT4_lli
; %bb.0:
	s_clause 0x1
	s_load_dword s0, s[4:5], 0x0
	s_load_dwordx16 s[12:27], s[4:5], 0x8
	s_waitcnt lgkmcnt(0)
	s_bitcmp1_b32 s0, 0
	v_mov_b32_e32 v2, s12
	v_mov_b32_e32 v3, s13
	s_cselect_b32 s0, -1, 0
	s_and_b32 vcc_lo, exec_lo, s0
	s_cbranch_vccnz .LBB1_2
; %bb.1:
	v_mov_b32_e32 v2, s12
	v_mov_b32_e32 v3, s13
	flat_load_dwordx2 v[2:3], v[2:3]
.LBB1_2:
	s_mov_b32 s0, exec_lo
	s_waitcnt vmcnt(0) lgkmcnt(0)
	v_cmpx_neq_f64_e32 0, v[2:3]
	s_cbranch_execz .LBB1_13
; %bb.3:
	s_load_dwordx2 s[0:1], s[4:5], 0x0
	v_lshl_add_u32 v4, s6, 7, v0
	v_lshl_add_u32 v1, s7, 3, v1
	s_mov_b32 s2, -1
                                        ; implicit-def: $vgpr0
	s_waitcnt lgkmcnt(0)
	s_bitcmp1_b32 s0, 8
	s_cselect_b32 s0, -1, 0
	s_xor_b32 s0, s0, -1
	s_and_b32 vcc_lo, exec_lo, s0
	s_cbranch_vccnz .LBB1_7
; %bb.4:
	s_andn2_b32 vcc_lo, exec_lo, s2
	s_cbranch_vccz .LBB1_8
.LBB1_5:
	s_and_b32 vcc_lo, exec_lo, s0
	s_cbranch_vccz .LBB1_9
.LBB1_6:
	v_cmp_gt_i32_e32 vcc_lo, s1, v4
	v_cmp_ge_i32_e64 s0, v4, v1
	s_and_b32 s2, s0, vcc_lo
	s_and_b32 s2, s2, exec_lo
	s_cbranch_execz .LBB1_10
	s_branch .LBB1_11
.LBB1_7:
	s_lshl_b32 s2, s1, 1
	v_sub_nc_u32_e32 v0, s2, v1
	v_mad_u64_u32 v[5:6], null, v1, v0, v[1:2]
	v_lshrrev_b32_e32 v0, 31, v5
	v_add_nc_u32_e32 v0, v5, v0
	v_sub_nc_u32_e32 v5, v4, v1
	v_ashrrev_i32_e32 v0, 1, v0
	v_add_nc_u32_e32 v0, v5, v0
	s_cbranch_execnz .LBB1_5
.LBB1_8:
	v_mad_u64_u32 v[5:6], null, v1, v1, v[1:2]
	v_lshrrev_b32_e32 v0, 31, v5
	v_add_nc_u32_e32 v0, v5, v0
	v_ashrrev_i32_e32 v0, 1, v0
	v_add_nc_u32_e32 v0, v0, v4
	s_and_b32 vcc_lo, exec_lo, s0
	s_cbranch_vccnz .LBB1_6
.LBB1_9:
	s_mov_b32 s2, 0
.LBB1_10:
	v_cmp_gt_i32_e32 vcc_lo, s1, v1
	v_cmp_le_i32_e64 s0, v4, v1
	s_andn2_b32 s1, s2, exec_lo
	s_and_b32 s0, s0, vcc_lo
	s_and_b32 s0, s0, exec_lo
	s_or_b32 s2, s1, s0
.LBB1_11:
	s_and_b32 exec_lo, exec_lo, s2
	s_cbranch_execz .LBB1_13
; %bb.12:
	s_load_dwordx8 s[0:7], s[4:5], 0x48
	v_ashrrev_i32_e32 v9, 31, v4
	s_mul_i32 s9, s21, s8
	s_mul_hi_u32 s11, s20, s8
	s_mul_i32 s10, s20, s8
	s_add_i32 s11, s11, s9
	v_mul_lo_u32 v7, s27, v4
	v_mad_u64_u32 v[5:6], null, s26, v4, 0
	v_mul_lo_u32 v8, s26, v9
	s_lshl_b64 s[10:11], s[10:11], 3
	v_ashrrev_i32_e32 v11, 31, v1
	s_add_u32 s9, s14, s10
	s_addc_u32 s12, s15, s11
	s_lshl_b64 s[10:11], s[16:17], 3
	v_mul_lo_u32 v14, s19, v4
	s_add_u32 s9, s9, s10
	s_addc_u32 s10, s12, s11
	v_add3_u32 v6, v6, v8, v7
	v_mul_lo_u32 v15, s18, v9
	s_waitcnt lgkmcnt(0)
	s_mul_i32 s1, s1, s8
	s_mul_hi_u32 s11, s0, s8
	s_mul_i32 s0, s0, s8
	s_add_i32 s1, s11, s1
	v_lshlrev_b64 v[5:6], 3, v[5:6]
	s_lshl_b64 s[0:1], s[0:1], 3
	v_mad_u64_u32 v[9:10], null, s18, v4, 0
	s_add_u32 s11, s22, s0
	s_addc_u32 s12, s23, s1
	s_lshl_b64 s[0:1], s[24:25], 3
	v_mul_lo_u32 v12, s19, v1
	s_add_u32 s0, s11, s0
	s_addc_u32 s1, s12, s1
	v_add_co_u32 v4, vcc_lo, s0, v5
	v_mul_lo_u32 v13, s18, v11
	v_mad_u64_u32 v[7:8], null, s18, v1, 0
	v_add_co_ci_u32_e64 v5, null, s1, v6, vcc_lo
	v_add3_u32 v10, v10, v15, v14
	global_load_dwordx2 v[4:5], v[4:5], off
	v_add3_u32 v8, v8, v13, v12
	v_mul_lo_u32 v12, s27, v1
	v_mul_lo_u32 v13, s26, v11
	v_lshlrev_b64 v[6:7], 3, v[7:8]
	v_lshlrev_b64 v[8:9], 3, v[9:10]
	v_mad_u64_u32 v[10:11], null, s26, v1, 0
	v_ashrrev_i32_e32 v1, 31, v0
	v_add_co_u32 v6, vcc_lo, s9, v6
	v_add_co_ci_u32_e64 v7, null, s10, v7, vcc_lo
	v_add_co_u32 v8, vcc_lo, s9, v8
	v_add_co_ci_u32_e64 v9, null, s10, v9, vcc_lo
	s_clause 0x1
	global_load_dwordx2 v[8:9], v[8:9], off
	global_load_dwordx2 v[6:7], v[6:7], off
	v_add3_u32 v11, v11, v13, v12
	v_lshlrev_b64 v[0:1], 3, v[0:1]
	v_lshlrev_b64 v[10:11], 3, v[10:11]
	v_add_co_u32 v10, vcc_lo, s0, v10
	v_add_co_ci_u32_e64 v11, null, s1, v11, vcc_lo
	s_mul_i32 s0, s7, s8
	s_mul_hi_u32 s1, s6, s8
	global_load_dwordx2 v[10:11], v[10:11], off
	s_add_i32 s1, s1, s0
	s_mul_i32 s0, s6, s8
	s_lshl_b64 s[0:1], s[0:1], 3
	s_add_u32 s2, s2, s0
	s_addc_u32 s3, s3, s1
	s_lshl_b64 s[0:1], s[4:5], 3
	s_add_u32 s0, s2, s0
	s_addc_u32 s1, s3, s1
	v_add_co_u32 v0, vcc_lo, s0, v0
	v_add_co_ci_u32_e64 v1, null, s1, v1, vcc_lo
	global_load_dwordx2 v[12:13], v[0:1], off
	s_waitcnt vmcnt(4)
	v_mul_f64 v[4:5], v[2:3], v[4:5]
	s_waitcnt vmcnt(3)
	v_mul_f64 v[2:3], v[2:3], v[8:9]
	;; [unrolled: 2-line block ×3, first 2 shown]
	s_waitcnt vmcnt(1)
	v_fma_f64 v[2:3], v[2:3], v[10:11], v[4:5]
	s_waitcnt vmcnt(0)
	v_add_f64 v[2:3], v[12:13], v[2:3]
	global_store_dwordx2 v[0:1], v[2:3], off
.LBB1_13:
	s_endpgm
	.section	.rodata,"a",@progbits
	.p2align	6, 0x0
	.amdhsa_kernel _ZL19rocblas_spr2_kernelILi128ELi8ELi1E24rocblas_internal_val_ptrIdEPKdPdEvbbiT2_T3_lllS6_lllT4_lli
		.amdhsa_group_segment_fixed_size 0
		.amdhsa_private_segment_fixed_size 0
		.amdhsa_kernarg_size 108
		.amdhsa_user_sgpr_count 6
		.amdhsa_user_sgpr_private_segment_buffer 1
		.amdhsa_user_sgpr_dispatch_ptr 0
		.amdhsa_user_sgpr_queue_ptr 0
		.amdhsa_user_sgpr_kernarg_segment_ptr 1
		.amdhsa_user_sgpr_dispatch_id 0
		.amdhsa_user_sgpr_flat_scratch_init 0
		.amdhsa_user_sgpr_private_segment_size 0
		.amdhsa_wavefront_size32 1
		.amdhsa_uses_dynamic_stack 0
		.amdhsa_system_sgpr_private_segment_wavefront_offset 0
		.amdhsa_system_sgpr_workgroup_id_x 1
		.amdhsa_system_sgpr_workgroup_id_y 1
		.amdhsa_system_sgpr_workgroup_id_z 1
		.amdhsa_system_sgpr_workgroup_info 0
		.amdhsa_system_vgpr_workitem_id 1
		.amdhsa_next_free_vgpr 16
		.amdhsa_next_free_sgpr 28
		.amdhsa_reserve_vcc 1
		.amdhsa_reserve_flat_scratch 0
		.amdhsa_float_round_mode_32 0
		.amdhsa_float_round_mode_16_64 0
		.amdhsa_float_denorm_mode_32 3
		.amdhsa_float_denorm_mode_16_64 3
		.amdhsa_dx10_clamp 1
		.amdhsa_ieee_mode 1
		.amdhsa_fp16_overflow 0
		.amdhsa_workgroup_processor_mode 1
		.amdhsa_memory_ordered 1
		.amdhsa_forward_progress 1
		.amdhsa_shared_vgpr_count 0
		.amdhsa_exception_fp_ieee_invalid_op 0
		.amdhsa_exception_fp_denorm_src 0
		.amdhsa_exception_fp_ieee_div_zero 0
		.amdhsa_exception_fp_ieee_overflow 0
		.amdhsa_exception_fp_ieee_underflow 0
		.amdhsa_exception_fp_ieee_inexact 0
		.amdhsa_exception_int_div_zero 0
	.end_amdhsa_kernel
	.section	.text._ZL19rocblas_spr2_kernelILi128ELi8ELi1E24rocblas_internal_val_ptrIdEPKdPdEvbbiT2_T3_lllS6_lllT4_lli,"axG",@progbits,_ZL19rocblas_spr2_kernelILi128ELi8ELi1E24rocblas_internal_val_ptrIdEPKdPdEvbbiT2_T3_lllS6_lllT4_lli,comdat
.Lfunc_end1:
	.size	_ZL19rocblas_spr2_kernelILi128ELi8ELi1E24rocblas_internal_val_ptrIdEPKdPdEvbbiT2_T3_lllS6_lllT4_lli, .Lfunc_end1-_ZL19rocblas_spr2_kernelILi128ELi8ELi1E24rocblas_internal_val_ptrIdEPKdPdEvbbiT2_T3_lllS6_lllT4_lli
                                        ; -- End function
	.set _ZL19rocblas_spr2_kernelILi128ELi8ELi1E24rocblas_internal_val_ptrIdEPKdPdEvbbiT2_T3_lllS6_lllT4_lli.num_vgpr, 16
	.set _ZL19rocblas_spr2_kernelILi128ELi8ELi1E24rocblas_internal_val_ptrIdEPKdPdEvbbiT2_T3_lllS6_lllT4_lli.num_agpr, 0
	.set _ZL19rocblas_spr2_kernelILi128ELi8ELi1E24rocblas_internal_val_ptrIdEPKdPdEvbbiT2_T3_lllS6_lllT4_lli.numbered_sgpr, 28
	.set _ZL19rocblas_spr2_kernelILi128ELi8ELi1E24rocblas_internal_val_ptrIdEPKdPdEvbbiT2_T3_lllS6_lllT4_lli.num_named_barrier, 0
	.set _ZL19rocblas_spr2_kernelILi128ELi8ELi1E24rocblas_internal_val_ptrIdEPKdPdEvbbiT2_T3_lllS6_lllT4_lli.private_seg_size, 0
	.set _ZL19rocblas_spr2_kernelILi128ELi8ELi1E24rocblas_internal_val_ptrIdEPKdPdEvbbiT2_T3_lllS6_lllT4_lli.uses_vcc, 1
	.set _ZL19rocblas_spr2_kernelILi128ELi8ELi1E24rocblas_internal_val_ptrIdEPKdPdEvbbiT2_T3_lllS6_lllT4_lli.uses_flat_scratch, 0
	.set _ZL19rocblas_spr2_kernelILi128ELi8ELi1E24rocblas_internal_val_ptrIdEPKdPdEvbbiT2_T3_lllS6_lllT4_lli.has_dyn_sized_stack, 0
	.set _ZL19rocblas_spr2_kernelILi128ELi8ELi1E24rocblas_internal_val_ptrIdEPKdPdEvbbiT2_T3_lllS6_lllT4_lli.has_recursion, 0
	.set _ZL19rocblas_spr2_kernelILi128ELi8ELi1E24rocblas_internal_val_ptrIdEPKdPdEvbbiT2_T3_lllS6_lllT4_lli.has_indirect_call, 0
	.section	.AMDGPU.csdata,"",@progbits
; Kernel info:
; codeLenInByte = 796
; TotalNumSgprs: 30
; NumVgprs: 16
; ScratchSize: 0
; MemoryBound: 0
; FloatMode: 240
; IeeeMode: 1
; LDSByteSize: 0 bytes/workgroup (compile time only)
; SGPRBlocks: 0
; VGPRBlocks: 1
; NumSGPRsForWavesPerEU: 30
; NumVGPRsForWavesPerEU: 16
; Occupancy: 16
; WaveLimiterHint : 0
; COMPUTE_PGM_RSRC2:SCRATCH_EN: 0
; COMPUTE_PGM_RSRC2:USER_SGPR: 6
; COMPUTE_PGM_RSRC2:TRAP_HANDLER: 0
; COMPUTE_PGM_RSRC2:TGID_X_EN: 1
; COMPUTE_PGM_RSRC2:TGID_Y_EN: 1
; COMPUTE_PGM_RSRC2:TGID_Z_EN: 1
; COMPUTE_PGM_RSRC2:TIDIG_COMP_CNT: 1
	.section	.text._ZL19rocblas_spr2_kernelILi128ELi8ELi2E24rocblas_internal_val_ptrIfEPKPKfPKPfEvbbiT2_T3_lllSA_lllT4_lli,"axG",@progbits,_ZL19rocblas_spr2_kernelILi128ELi8ELi2E24rocblas_internal_val_ptrIfEPKPKfPKPfEvbbiT2_T3_lllSA_lllT4_lli,comdat
	.globl	_ZL19rocblas_spr2_kernelILi128ELi8ELi2E24rocblas_internal_val_ptrIfEPKPKfPKPfEvbbiT2_T3_lllSA_lllT4_lli ; -- Begin function _ZL19rocblas_spr2_kernelILi128ELi8ELi2E24rocblas_internal_val_ptrIfEPKPKfPKPfEvbbiT2_T3_lllSA_lllT4_lli
	.p2align	8
	.type	_ZL19rocblas_spr2_kernelILi128ELi8ELi2E24rocblas_internal_val_ptrIfEPKPKfPKPfEvbbiT2_T3_lllSA_lllT4_lli,@function
_ZL19rocblas_spr2_kernelILi128ELi8ELi2E24rocblas_internal_val_ptrIfEPKPKfPKPfEvbbiT2_T3_lllSA_lllT4_lli: ; @_ZL19rocblas_spr2_kernelILi128ELi8ELi2E24rocblas_internal_val_ptrIfEPKPKfPKPfEvbbiT2_T3_lllSA_lllT4_lli
; %bb.0:
	s_clause 0x1
	s_load_dword s0, s[4:5], 0x0
	s_load_dwordx8 s[12:19], s[4:5], 0x8
	s_waitcnt lgkmcnt(0)
	s_bitcmp0_b32 s0, 0
	s_mov_b32 s0, 0
	s_cbranch_scc0 .LBB2_2
; %bb.1:
	s_load_dword s24, s[12:13], 0x0
	s_andn2_b32 vcc_lo, exec_lo, s0
	s_cbranch_vccz .LBB2_3
	s_branch .LBB2_4
.LBB2_2:
                                        ; implicit-def: $sgpr24
.LBB2_3:
	s_waitcnt lgkmcnt(0)
	s_mov_b32 s24, s12
.LBB2_4:
	s_waitcnt lgkmcnt(0)
	v_cmp_eq_f32_e64 s0, s24, 0
	s_mov_b32 s9, 0
	s_and_b32 vcc_lo, exec_lo, s0
	s_cbranch_vccnz .LBB2_22
; %bb.5:
	s_clause 0x3
	s_load_dwordx2 s[10:11], s[4:5], 0x0
	s_load_dwordx4 s[20:23], s[4:5], 0x50
	s_load_dwordx4 s[0:3], s[4:5], 0x30
	s_load_dwordx2 s[4:5], s[4:5], 0x40
	v_lshl_add_u32 v7, s6, 8, v0
	v_lshl_add_u32 v2, s7, 3, v1
	s_mov_b32 s6, -1
                                        ; implicit-def: $vgpr0
	s_waitcnt lgkmcnt(0)
	s_bitcmp1_b32 s10, 8
	s_cselect_b32 s10, -1, 0
	s_lshl_b64 s[12:13], s[8:9], 3
	s_xor_b32 s10, s10, -1
	s_add_u32 s8, s20, s12
	s_addc_u32 s9, s21, s13
	s_add_u32 s14, s14, s12
	s_addc_u32 s15, s15, s13
	s_add_u32 s0, s0, s12
	s_addc_u32 s1, s1, s13
	s_load_dwordx2 s[8:9], s[8:9], 0x0
	s_load_dwordx2 s[12:13], s[14:15], 0x0
	;; [unrolled: 1-line block ×3, first 2 shown]
	s_and_b32 vcc_lo, exec_lo, s10
	s_cbranch_vccz .LBB2_7
; %bb.6:
	s_lshl_b32 s6, s11, 1
	v_sub_nc_u32_e32 v0, s6, v2
	s_mov_b32 s6, 0
	v_mad_u64_u32 v[0:1], null, v2, v0, v[2:3]
	v_lshrrev_b32_e32 v1, 31, v0
	v_add_nc_u32_e32 v0, v0, v1
	v_sub_nc_u32_e32 v1, v7, v2
	v_ashrrev_i32_e32 v0, 1, v0
	v_add_nc_u32_e32 v0, v1, v0
.LBB2_7:
	s_andn2_b32 vcc_lo, exec_lo, s6
	s_cbranch_vccnz .LBB2_9
; %bb.8:
	v_mad_u64_u32 v[0:1], null, v2, v2, v[2:3]
	v_lshrrev_b32_e32 v1, 31, v0
	v_add_nc_u32_e32 v0, v0, v1
	v_ashrrev_i32_e32 v0, 1, v0
	v_add_nc_u32_e32 v0, v0, v7
.LBB2_9:
	v_ashrrev_i32_e32 v1, 31, v2
	v_mul_lo_u32 v8, s5, v2
	v_mad_u64_u32 v[3:4], null, s4, v2, 0
	v_mul_lo_u32 v10, s19, v2
	v_mul_lo_u32 v9, s4, v1
	;; [unrolled: 1-line block ×3, first 2 shown]
	v_mad_u64_u32 v[5:6], null, s18, v2, 0
	s_lshl_b64 s[6:7], s[22:23], 2
	s_waitcnt lgkmcnt(0)
	s_add_u32 s6, s8, s6
	s_addc_u32 s7, s9, s7
	v_add3_u32 v4, v4, v9, v8
	s_lshl_b64 s[8:9], s[16:17], 2
	v_add3_u32 v6, v6, v1, v10
	s_add_u32 s8, s12, s8
	s_addc_u32 s9, s13, s9
	s_lshl_b64 s[2:3], s[2:3], 2
	v_lshlrev_b64 v[3:4], 2, v[3:4]
	v_lshlrev_b64 v[5:6], 2, v[5:6]
	s_add_u32 s2, s0, s2
	v_cmp_le_i32_e64 s0, s11, v2
	s_addc_u32 s3, s1, s3
	s_and_b32 vcc_lo, exec_lo, s10
	s_cbranch_vccz .LBB2_11
; %bb.10:
	v_cmp_gt_i32_e32 vcc_lo, s11, v7
	v_cmp_ge_i32_e64 s1, v7, v2
	s_and_b32 s12, s1, vcc_lo
	s_mov_b32 s1, 0
	s_and_b32 s12, s12, exec_lo
	s_branch .LBB2_12
.LBB2_11:
	s_mov_b32 s1, -1
	s_mov_b32 s12, 0
.LBB2_12:
	v_add_co_u32 v3, vcc_lo, s2, v3
	v_add_co_ci_u32_e64 v4, null, s3, v4, vcc_lo
	v_add_co_u32 v5, vcc_lo, s8, v5
	v_add_co_ci_u32_e64 v6, null, s9, v6, vcc_lo
	s_andn2_b32 vcc_lo, exec_lo, s1
	s_cbranch_vccz .LBB2_16
; %bb.13:
	v_ashrrev_i32_e32 v1, 31, v0
	s_and_saveexec_b32 s1, s12
	s_cbranch_execnz .LBB2_17
.LBB2_14:
	s_or_b32 exec_lo, exec_lo, s1
	v_add_nc_u32_e32 v7, 0x80, v7
	s_andn2_b32 vcc_lo, exec_lo, s10
	s_cbranch_vccnz .LBB2_18
.LBB2_15:
	v_cmp_gt_i32_e32 vcc_lo, s11, v7
	v_cmp_le_i32_e64 s1, v2, v7
	s_and_b32 s1, s1, vcc_lo
	s_and_b32 s1, s1, exec_lo
	s_cbranch_execz .LBB2_19
	s_branch .LBB2_20
.LBB2_16:
	v_cmp_le_i32_e32 vcc_lo, v7, v2
	s_xor_b32 s1, s0, -1
	s_andn2_b32 s12, s12, exec_lo
	s_and_b32 s1, vcc_lo, s1
	s_and_b32 s1, s1, exec_lo
	s_or_b32 s12, s12, s1
	v_ashrrev_i32_e32 v1, 31, v0
	s_and_saveexec_b32 s1, s12
	s_cbranch_execz .LBB2_14
.LBB2_17:
	v_ashrrev_i32_e32 v12, 31, v7
	v_mul_lo_u32 v13, s5, v7
	v_mad_u64_u32 v[8:9], null, s4, v7, 0
	v_mul_lo_u32 v15, s19, v7
	v_mul_lo_u32 v14, s4, v12
	v_mad_u64_u32 v[10:11], null, s18, v7, 0
	v_mul_lo_u32 v12, s18, v12
	v_add3_u32 v9, v9, v14, v13
	v_add3_u32 v11, v11, v12, v15
	v_lshlrev_b64 v[8:9], 2, v[8:9]
	v_lshlrev_b64 v[10:11], 2, v[10:11]
	v_add_co_u32 v8, vcc_lo, s2, v8
	v_add_co_ci_u32_e64 v9, null, s3, v9, vcc_lo
	v_add_co_u32 v10, vcc_lo, s8, v10
	v_add_co_ci_u32_e64 v11, null, s9, v11, vcc_lo
	flat_load_dword v12, v[8:9]
	v_lshlrev_b64 v[8:9], 2, v[0:1]
	s_clause 0x1
	flat_load_dword v10, v[10:11]
	flat_load_dword v11, v[5:6]
	;; [unrolled: 1-line block ×3, first 2 shown]
	v_add_co_u32 v8, vcc_lo, s6, v8
	v_add_co_ci_u32_e64 v9, null, s7, v9, vcc_lo
	flat_load_dword v14, v[8:9]
	s_waitcnt vmcnt(4) lgkmcnt(4)
	v_mul_f32_e32 v12, s24, v12
	s_waitcnt vmcnt(3) lgkmcnt(3)
	v_mul_f32_e32 v10, s24, v10
	;; [unrolled: 2-line block ×3, first 2 shown]
	s_waitcnt vmcnt(1) lgkmcnt(1)
	v_fmac_f32_e32 v11, v10, v13
	s_waitcnt vmcnt(0) lgkmcnt(0)
	v_add_f32_e32 v10, v14, v11
	flat_store_dword v[8:9], v10
	s_or_b32 exec_lo, exec_lo, s1
	v_add_nc_u32_e32 v7, 0x80, v7
	s_andn2_b32 vcc_lo, exec_lo, s10
	s_cbranch_vccz .LBB2_15
.LBB2_18:
	s_mov_b32 s1, 0
.LBB2_19:
	v_cmp_le_i32_e32 vcc_lo, v7, v2
	s_xor_b32 s0, s0, -1
	s_andn2_b32 s1, s1, exec_lo
	s_and_b32 s0, s0, vcc_lo
	s_and_b32 s0, s0, exec_lo
	s_or_b32 s1, s1, s0
.LBB2_20:
	s_and_saveexec_b32 s0, s1
	s_cbranch_execz .LBB2_22
; %bb.21:
	v_ashrrev_i32_e32 v2, 31, v7
	v_mul_lo_u32 v12, s5, v7
	v_mad_u64_u32 v[8:9], null, s4, v7, 0
	v_mul_lo_u32 v14, s19, v7
	v_mul_lo_u32 v13, s4, v2
	v_mad_u64_u32 v[10:11], null, s18, v7, 0
	v_mul_lo_u32 v2, s18, v2
	v_lshlrev_b64 v[0:1], 2, v[0:1]
	v_add3_u32 v9, v9, v13, v12
	v_add3_u32 v11, v11, v2, v14
	v_lshlrev_b64 v[7:8], 2, v[8:9]
	v_lshlrev_b64 v[9:10], 2, v[10:11]
	v_add_co_u32 v7, vcc_lo, s2, v7
	v_add_co_ci_u32_e64 v8, null, s3, v8, vcc_lo
	v_add_co_u32 v9, vcc_lo, s8, v9
	v_add_co_ci_u32_e64 v10, null, s9, v10, vcc_lo
	flat_load_dword v2, v[7:8]
	s_clause 0x1
	flat_load_dword v7, v[9:10]
	flat_load_dword v5, v[5:6]
	;; [unrolled: 1-line block ×3, first 2 shown]
	v_add_co_u32 v0, vcc_lo, s6, v0
	v_add_co_ci_u32_e64 v1, null, s7, v1, vcc_lo
	flat_load_dword v4, v[0:1] offset:512
	s_waitcnt vmcnt(4) lgkmcnt(4)
	v_mul_f32_e32 v2, s24, v2
	s_waitcnt vmcnt(3) lgkmcnt(3)
	v_mul_f32_e32 v6, s24, v7
	;; [unrolled: 2-line block ×3, first 2 shown]
	s_waitcnt vmcnt(1) lgkmcnt(1)
	v_fmac_f32_e32 v2, v6, v3
	s_waitcnt vmcnt(0) lgkmcnt(0)
	v_add_f32_e32 v2, v4, v2
	flat_store_dword v[0:1], v2 offset:512
.LBB2_22:
	s_endpgm
	.section	.rodata,"a",@progbits
	.p2align	6, 0x0
	.amdhsa_kernel _ZL19rocblas_spr2_kernelILi128ELi8ELi2E24rocblas_internal_val_ptrIfEPKPKfPKPfEvbbiT2_T3_lllSA_lllT4_lli
		.amdhsa_group_segment_fixed_size 0
		.amdhsa_private_segment_fixed_size 0
		.amdhsa_kernarg_size 108
		.amdhsa_user_sgpr_count 6
		.amdhsa_user_sgpr_private_segment_buffer 1
		.amdhsa_user_sgpr_dispatch_ptr 0
		.amdhsa_user_sgpr_queue_ptr 0
		.amdhsa_user_sgpr_kernarg_segment_ptr 1
		.amdhsa_user_sgpr_dispatch_id 0
		.amdhsa_user_sgpr_flat_scratch_init 0
		.amdhsa_user_sgpr_private_segment_size 0
		.amdhsa_wavefront_size32 1
		.amdhsa_uses_dynamic_stack 0
		.amdhsa_system_sgpr_private_segment_wavefront_offset 0
		.amdhsa_system_sgpr_workgroup_id_x 1
		.amdhsa_system_sgpr_workgroup_id_y 1
		.amdhsa_system_sgpr_workgroup_id_z 1
		.amdhsa_system_sgpr_workgroup_info 0
		.amdhsa_system_vgpr_workitem_id 1
		.amdhsa_next_free_vgpr 16
		.amdhsa_next_free_sgpr 25
		.amdhsa_reserve_vcc 1
		.amdhsa_reserve_flat_scratch 1
		.amdhsa_float_round_mode_32 0
		.amdhsa_float_round_mode_16_64 0
		.amdhsa_float_denorm_mode_32 3
		.amdhsa_float_denorm_mode_16_64 3
		.amdhsa_dx10_clamp 1
		.amdhsa_ieee_mode 1
		.amdhsa_fp16_overflow 0
		.amdhsa_workgroup_processor_mode 1
		.amdhsa_memory_ordered 1
		.amdhsa_forward_progress 1
		.amdhsa_shared_vgpr_count 0
		.amdhsa_exception_fp_ieee_invalid_op 0
		.amdhsa_exception_fp_denorm_src 0
		.amdhsa_exception_fp_ieee_div_zero 0
		.amdhsa_exception_fp_ieee_overflow 0
		.amdhsa_exception_fp_ieee_underflow 0
		.amdhsa_exception_fp_ieee_inexact 0
		.amdhsa_exception_int_div_zero 0
	.end_amdhsa_kernel
	.section	.text._ZL19rocblas_spr2_kernelILi128ELi8ELi2E24rocblas_internal_val_ptrIfEPKPKfPKPfEvbbiT2_T3_lllSA_lllT4_lli,"axG",@progbits,_ZL19rocblas_spr2_kernelILi128ELi8ELi2E24rocblas_internal_val_ptrIfEPKPKfPKPfEvbbiT2_T3_lllSA_lllT4_lli,comdat
.Lfunc_end2:
	.size	_ZL19rocblas_spr2_kernelILi128ELi8ELi2E24rocblas_internal_val_ptrIfEPKPKfPKPfEvbbiT2_T3_lllSA_lllT4_lli, .Lfunc_end2-_ZL19rocblas_spr2_kernelILi128ELi8ELi2E24rocblas_internal_val_ptrIfEPKPKfPKPfEvbbiT2_T3_lllSA_lllT4_lli
                                        ; -- End function
	.set _ZL19rocblas_spr2_kernelILi128ELi8ELi2E24rocblas_internal_val_ptrIfEPKPKfPKPfEvbbiT2_T3_lllSA_lllT4_lli.num_vgpr, 16
	.set _ZL19rocblas_spr2_kernelILi128ELi8ELi2E24rocblas_internal_val_ptrIfEPKPKfPKPfEvbbiT2_T3_lllSA_lllT4_lli.num_agpr, 0
	.set _ZL19rocblas_spr2_kernelILi128ELi8ELi2E24rocblas_internal_val_ptrIfEPKPKfPKPfEvbbiT2_T3_lllSA_lllT4_lli.numbered_sgpr, 25
	.set _ZL19rocblas_spr2_kernelILi128ELi8ELi2E24rocblas_internal_val_ptrIfEPKPKfPKPfEvbbiT2_T3_lllSA_lllT4_lli.num_named_barrier, 0
	.set _ZL19rocblas_spr2_kernelILi128ELi8ELi2E24rocblas_internal_val_ptrIfEPKPKfPKPfEvbbiT2_T3_lllSA_lllT4_lli.private_seg_size, 0
	.set _ZL19rocblas_spr2_kernelILi128ELi8ELi2E24rocblas_internal_val_ptrIfEPKPKfPKPfEvbbiT2_T3_lllSA_lllT4_lli.uses_vcc, 1
	.set _ZL19rocblas_spr2_kernelILi128ELi8ELi2E24rocblas_internal_val_ptrIfEPKPKfPKPfEvbbiT2_T3_lllSA_lllT4_lli.uses_flat_scratch, 1
	.set _ZL19rocblas_spr2_kernelILi128ELi8ELi2E24rocblas_internal_val_ptrIfEPKPKfPKPfEvbbiT2_T3_lllSA_lllT4_lli.has_dyn_sized_stack, 0
	.set _ZL19rocblas_spr2_kernelILi128ELi8ELi2E24rocblas_internal_val_ptrIfEPKPKfPKPfEvbbiT2_T3_lllSA_lllT4_lli.has_recursion, 0
	.set _ZL19rocblas_spr2_kernelILi128ELi8ELi2E24rocblas_internal_val_ptrIfEPKPKfPKPfEvbbiT2_T3_lllSA_lllT4_lli.has_indirect_call, 0
	.section	.AMDGPU.csdata,"",@progbits
; Kernel info:
; codeLenInByte = 1128
; TotalNumSgprs: 27
; NumVgprs: 16
; ScratchSize: 0
; MemoryBound: 0
; FloatMode: 240
; IeeeMode: 1
; LDSByteSize: 0 bytes/workgroup (compile time only)
; SGPRBlocks: 0
; VGPRBlocks: 1
; NumSGPRsForWavesPerEU: 27
; NumVGPRsForWavesPerEU: 16
; Occupancy: 16
; WaveLimiterHint : 1
; COMPUTE_PGM_RSRC2:SCRATCH_EN: 0
; COMPUTE_PGM_RSRC2:USER_SGPR: 6
; COMPUTE_PGM_RSRC2:TRAP_HANDLER: 0
; COMPUTE_PGM_RSRC2:TGID_X_EN: 1
; COMPUTE_PGM_RSRC2:TGID_Y_EN: 1
; COMPUTE_PGM_RSRC2:TGID_Z_EN: 1
; COMPUTE_PGM_RSRC2:TIDIG_COMP_CNT: 1
	.section	.text._ZL19rocblas_spr2_kernelILi128ELi8ELi1E24rocblas_internal_val_ptrIdEPKPKdPKPdEvbbiT2_T3_lllSA_lllT4_lli,"axG",@progbits,_ZL19rocblas_spr2_kernelILi128ELi8ELi1E24rocblas_internal_val_ptrIdEPKPKdPKPdEvbbiT2_T3_lllSA_lllT4_lli,comdat
	.globl	_ZL19rocblas_spr2_kernelILi128ELi8ELi1E24rocblas_internal_val_ptrIdEPKPKdPKPdEvbbiT2_T3_lllSA_lllT4_lli ; -- Begin function _ZL19rocblas_spr2_kernelILi128ELi8ELi1E24rocblas_internal_val_ptrIdEPKPKdPKPdEvbbiT2_T3_lllSA_lllT4_lli
	.p2align	8
	.type	_ZL19rocblas_spr2_kernelILi128ELi8ELi1E24rocblas_internal_val_ptrIdEPKPKdPKPdEvbbiT2_T3_lllSA_lllT4_lli,@function
_ZL19rocblas_spr2_kernelILi128ELi8ELi1E24rocblas_internal_val_ptrIdEPKPKdPKPdEvbbiT2_T3_lllSA_lllT4_lli: ; @_ZL19rocblas_spr2_kernelILi128ELi8ELi1E24rocblas_internal_val_ptrIdEPKPKdPKPdEvbbiT2_T3_lllSA_lllT4_lli
; %bb.0:
	s_clause 0x1
	s_load_dword s0, s[4:5], 0x0
	s_load_dwordx8 s[12:19], s[4:5], 0x8
	s_waitcnt lgkmcnt(0)
	s_bitcmp1_b32 s0, 0
	v_mov_b32_e32 v2, s12
	v_mov_b32_e32 v3, s13
	s_cselect_b32 s0, -1, 0
	s_and_b32 vcc_lo, exec_lo, s0
	s_cbranch_vccnz .LBB3_2
; %bb.1:
	v_mov_b32_e32 v2, s12
	v_mov_b32_e32 v3, s13
	flat_load_dwordx2 v[2:3], v[2:3]
.LBB3_2:
	s_mov_b32 s0, exec_lo
	s_waitcnt vmcnt(0) lgkmcnt(0)
	v_cmpx_neq_f64_e32 0, v[2:3]
	s_cbranch_execz .LBB3_13
; %bb.3:
	s_clause 0x2
	s_load_dwordx2 s[12:13], s[4:5], 0x0
	s_load_dwordx4 s[0:3], s[4:5], 0x50
	s_load_dwordx4 s[20:23], s[4:5], 0x30
	s_mov_b32 s9, 0
	v_lshl_add_u32 v5, s6, 7, v0
	v_lshl_add_u32 v0, s7, 3, v1
                                        ; implicit-def: $vgpr4
	s_waitcnt lgkmcnt(0)
	s_bitcmp1_b32 s12, 8
	s_cselect_b32 s6, -1, 0
	s_lshl_b64 s[8:9], s[8:9], 3
	s_xor_b32 s12, s6, -1
	s_add_u32 s6, s0, s8
	s_addc_u32 s7, s1, s9
	s_add_u32 s10, s14, s8
	s_addc_u32 s11, s15, s9
	;; [unrolled: 2-line block ×3, first 2 shown]
	s_and_b32 vcc_lo, exec_lo, s12
	s_mov_b32 s0, -1
	s_cbranch_vccnz .LBB3_7
; %bb.4:
	s_andn2_b32 vcc_lo, exec_lo, s0
	s_cbranch_vccz .LBB3_8
.LBB3_5:
	s_and_b32 vcc_lo, exec_lo, s12
	s_cbranch_vccz .LBB3_9
.LBB3_6:
	v_cmp_gt_i32_e32 vcc_lo, s13, v5
	v_cmp_ge_i32_e64 s0, v5, v0
	s_and_b32 s1, s0, vcc_lo
	s_and_b32 s1, s1, exec_lo
	s_cbranch_execz .LBB3_10
	s_branch .LBB3_11
.LBB3_7:
	s_lshl_b32 s0, s13, 1
	v_sub_nc_u32_e32 v4, v5, v0
	v_sub_nc_u32_e32 v1, s0, v0
	v_mad_u64_u32 v[6:7], null, v0, v1, v[0:1]
	v_lshrrev_b32_e32 v1, 31, v6
	v_add_nc_u32_e32 v1, v6, v1
	v_ashrrev_i32_e32 v1, 1, v1
	v_add_nc_u32_e32 v4, v4, v1
	s_cbranch_execnz .LBB3_5
.LBB3_8:
	v_mad_u64_u32 v[6:7], null, v0, v0, v[0:1]
	v_lshrrev_b32_e32 v1, 31, v6
	v_add_nc_u32_e32 v1, v6, v1
	v_ashrrev_i32_e32 v1, 1, v1
	v_add_nc_u32_e32 v4, v1, v5
	s_and_b32 vcc_lo, exec_lo, s12
	s_cbranch_vccnz .LBB3_6
.LBB3_9:
	s_mov_b32 s1, 0
.LBB3_10:
	v_cmp_gt_i32_e32 vcc_lo, s13, v0
	v_cmp_le_i32_e64 s0, v5, v0
	s_andn2_b32 s1, s1, exec_lo
	s_and_b32 s0, s0, vcc_lo
	s_and_b32 s0, s0, exec_lo
	s_or_b32 s1, s1, s0
.LBB3_11:
	s_and_b32 exec_lo, exec_lo, s1
	s_cbranch_execz .LBB3_13
; %bb.12:
	s_load_dwordx2 s[0:1], s[4:5], 0x40
	s_load_dwordx2 s[4:5], s[10:11], 0x0
	v_ashrrev_i32_e32 v1, 31, v5
	s_load_dwordx2 s[8:9], s[8:9], 0x0
	s_lshl_b64 s[10:11], s[16:17], 3
	v_mul_lo_u32 v14, s19, v5
	v_ashrrev_i32_e32 v12, 31, v0
	v_mul_lo_u32 v13, s19, v0
	v_mad_u64_u32 v[8:9], null, s18, v0, 0
	v_mul_lo_u32 v15, s18, v12
	v_add3_u32 v9, v9, v15, v13
	s_waitcnt lgkmcnt(0)
	v_mul_lo_u32 v10, s1, v5
	v_mul_lo_u32 v11, s0, v1
	v_mad_u64_u32 v[6:7], null, s0, v5, 0
	s_add_u32 s10, s4, s10
	s_addc_u32 s11, s5, s11
	s_lshl_b64 s[4:5], s[22:23], 3
	v_mul_lo_u32 v1, s18, v1
	s_add_u32 s4, s8, s4
	s_addc_u32 s5, s9, s5
	v_add3_u32 v7, v7, v11, v10
	v_mad_u64_u32 v[10:11], null, s18, v5, 0
	v_lshlrev_b64 v[8:9], 3, v[8:9]
	v_mul_lo_u32 v12, s0, v12
	v_lshlrev_b64 v[5:6], 3, v[6:7]
	s_lshl_b64 s[2:3], s[2:3], 3
	v_add3_u32 v11, v11, v1, v14
	v_add_co_u32 v5, vcc_lo, s4, v5
	v_add_co_ci_u32_e64 v6, null, s5, v6, vcc_lo
	v_lshlrev_b64 v[10:11], 3, v[10:11]
	v_add_co_u32 v8, vcc_lo, s10, v8
	flat_load_dwordx2 v[6:7], v[5:6]
	v_add_co_ci_u32_e64 v9, null, s11, v9, vcc_lo
	v_add_co_u32 v10, vcc_lo, s10, v10
	v_add_co_ci_u32_e64 v11, null, s11, v11, vcc_lo
	v_mul_lo_u32 v5, s1, v0
	v_mad_u64_u32 v[0:1], null, s0, v0, 0
	s_clause 0x1
	flat_load_dwordx2 v[10:11], v[10:11]
	flat_load_dwordx2 v[8:9], v[8:9]
	s_load_dwordx2 s[0:1], s[6:7], 0x0
	v_add3_u32 v1, v1, v12, v5
	v_ashrrev_i32_e32 v5, 31, v4
	v_lshlrev_b64 v[0:1], 3, v[0:1]
	v_lshlrev_b64 v[4:5], 3, v[4:5]
	v_add_co_u32 v0, vcc_lo, s4, v0
	v_add_co_ci_u32_e64 v1, null, s5, v1, vcc_lo
	s_waitcnt lgkmcnt(0)
	s_add_u32 s0, s0, s2
	s_addc_u32 s1, s1, s3
	v_add_co_u32 v4, vcc_lo, s0, v4
	flat_load_dwordx2 v[0:1], v[0:1]
	v_add_co_ci_u32_e64 v5, null, s1, v5, vcc_lo
	flat_load_dwordx2 v[12:13], v[4:5]
	s_waitcnt vmcnt(4)
	v_mul_f64 v[6:7], v[2:3], v[6:7]
	s_waitcnt vmcnt(3)
	v_mul_f64 v[2:3], v[2:3], v[10:11]
	;; [unrolled: 2-line block ×3, first 2 shown]
	s_waitcnt vmcnt(1) lgkmcnt(1)
	v_fma_f64 v[0:1], v[2:3], v[0:1], v[6:7]
	s_waitcnt vmcnt(0) lgkmcnt(0)
	v_add_f64 v[0:1], v[12:13], v[0:1]
	flat_store_dwordx2 v[4:5], v[0:1]
.LBB3_13:
	s_endpgm
	.section	.rodata,"a",@progbits
	.p2align	6, 0x0
	.amdhsa_kernel _ZL19rocblas_spr2_kernelILi128ELi8ELi1E24rocblas_internal_val_ptrIdEPKPKdPKPdEvbbiT2_T3_lllSA_lllT4_lli
		.amdhsa_group_segment_fixed_size 0
		.amdhsa_private_segment_fixed_size 0
		.amdhsa_kernarg_size 108
		.amdhsa_user_sgpr_count 6
		.amdhsa_user_sgpr_private_segment_buffer 1
		.amdhsa_user_sgpr_dispatch_ptr 0
		.amdhsa_user_sgpr_queue_ptr 0
		.amdhsa_user_sgpr_kernarg_segment_ptr 1
		.amdhsa_user_sgpr_dispatch_id 0
		.amdhsa_user_sgpr_flat_scratch_init 0
		.amdhsa_user_sgpr_private_segment_size 0
		.amdhsa_wavefront_size32 1
		.amdhsa_uses_dynamic_stack 0
		.amdhsa_system_sgpr_private_segment_wavefront_offset 0
		.amdhsa_system_sgpr_workgroup_id_x 1
		.amdhsa_system_sgpr_workgroup_id_y 1
		.amdhsa_system_sgpr_workgroup_id_z 1
		.amdhsa_system_sgpr_workgroup_info 0
		.amdhsa_system_vgpr_workitem_id 1
		.amdhsa_next_free_vgpr 16
		.amdhsa_next_free_sgpr 24
		.amdhsa_reserve_vcc 1
		.amdhsa_reserve_flat_scratch 1
		.amdhsa_float_round_mode_32 0
		.amdhsa_float_round_mode_16_64 0
		.amdhsa_float_denorm_mode_32 3
		.amdhsa_float_denorm_mode_16_64 3
		.amdhsa_dx10_clamp 1
		.amdhsa_ieee_mode 1
		.amdhsa_fp16_overflow 0
		.amdhsa_workgroup_processor_mode 1
		.amdhsa_memory_ordered 1
		.amdhsa_forward_progress 1
		.amdhsa_shared_vgpr_count 0
		.amdhsa_exception_fp_ieee_invalid_op 0
		.amdhsa_exception_fp_denorm_src 0
		.amdhsa_exception_fp_ieee_div_zero 0
		.amdhsa_exception_fp_ieee_overflow 0
		.amdhsa_exception_fp_ieee_underflow 0
		.amdhsa_exception_fp_ieee_inexact 0
		.amdhsa_exception_int_div_zero 0
	.end_amdhsa_kernel
	.section	.text._ZL19rocblas_spr2_kernelILi128ELi8ELi1E24rocblas_internal_val_ptrIdEPKPKdPKPdEvbbiT2_T3_lllSA_lllT4_lli,"axG",@progbits,_ZL19rocblas_spr2_kernelILi128ELi8ELi1E24rocblas_internal_val_ptrIdEPKPKdPKPdEvbbiT2_T3_lllSA_lllT4_lli,comdat
.Lfunc_end3:
	.size	_ZL19rocblas_spr2_kernelILi128ELi8ELi1E24rocblas_internal_val_ptrIdEPKPKdPKPdEvbbiT2_T3_lllSA_lllT4_lli, .Lfunc_end3-_ZL19rocblas_spr2_kernelILi128ELi8ELi1E24rocblas_internal_val_ptrIdEPKPKdPKPdEvbbiT2_T3_lllSA_lllT4_lli
                                        ; -- End function
	.set _ZL19rocblas_spr2_kernelILi128ELi8ELi1E24rocblas_internal_val_ptrIdEPKPKdPKPdEvbbiT2_T3_lllSA_lllT4_lli.num_vgpr, 16
	.set _ZL19rocblas_spr2_kernelILi128ELi8ELi1E24rocblas_internal_val_ptrIdEPKPKdPKPdEvbbiT2_T3_lllSA_lllT4_lli.num_agpr, 0
	.set _ZL19rocblas_spr2_kernelILi128ELi8ELi1E24rocblas_internal_val_ptrIdEPKPKdPKPdEvbbiT2_T3_lllSA_lllT4_lli.numbered_sgpr, 24
	.set _ZL19rocblas_spr2_kernelILi128ELi8ELi1E24rocblas_internal_val_ptrIdEPKPKdPKPdEvbbiT2_T3_lllSA_lllT4_lli.num_named_barrier, 0
	.set _ZL19rocblas_spr2_kernelILi128ELi8ELi1E24rocblas_internal_val_ptrIdEPKPKdPKPdEvbbiT2_T3_lllSA_lllT4_lli.private_seg_size, 0
	.set _ZL19rocblas_spr2_kernelILi128ELi8ELi1E24rocblas_internal_val_ptrIdEPKPKdPKPdEvbbiT2_T3_lllSA_lllT4_lli.uses_vcc, 1
	.set _ZL19rocblas_spr2_kernelILi128ELi8ELi1E24rocblas_internal_val_ptrIdEPKPKdPKPdEvbbiT2_T3_lllSA_lllT4_lli.uses_flat_scratch, 1
	.set _ZL19rocblas_spr2_kernelILi128ELi8ELi1E24rocblas_internal_val_ptrIdEPKPKdPKPdEvbbiT2_T3_lllSA_lllT4_lli.has_dyn_sized_stack, 0
	.set _ZL19rocblas_spr2_kernelILi128ELi8ELi1E24rocblas_internal_val_ptrIdEPKPKdPKPdEvbbiT2_T3_lllSA_lllT4_lli.has_recursion, 0
	.set _ZL19rocblas_spr2_kernelILi128ELi8ELi1E24rocblas_internal_val_ptrIdEPKPKdPKPdEvbbiT2_T3_lllSA_lllT4_lli.has_indirect_call, 0
	.section	.AMDGPU.csdata,"",@progbits
; Kernel info:
; codeLenInByte = 792
; TotalNumSgprs: 26
; NumVgprs: 16
; ScratchSize: 0
; MemoryBound: 0
; FloatMode: 240
; IeeeMode: 1
; LDSByteSize: 0 bytes/workgroup (compile time only)
; SGPRBlocks: 0
; VGPRBlocks: 1
; NumSGPRsForWavesPerEU: 26
; NumVGPRsForWavesPerEU: 16
; Occupancy: 16
; WaveLimiterHint : 1
; COMPUTE_PGM_RSRC2:SCRATCH_EN: 0
; COMPUTE_PGM_RSRC2:USER_SGPR: 6
; COMPUTE_PGM_RSRC2:TRAP_HANDLER: 0
; COMPUTE_PGM_RSRC2:TGID_X_EN: 1
; COMPUTE_PGM_RSRC2:TGID_Y_EN: 1
; COMPUTE_PGM_RSRC2:TGID_Z_EN: 1
; COMPUTE_PGM_RSRC2:TIDIG_COMP_CNT: 1
	.section	.AMDGPU.gpr_maximums,"",@progbits
	.set amdgpu.max_num_vgpr, 0
	.set amdgpu.max_num_agpr, 0
	.set amdgpu.max_num_sgpr, 0
	.section	.AMDGPU.csdata,"",@progbits
	.type	__hip_cuid_92164fbd0fcecfc1,@object ; @__hip_cuid_92164fbd0fcecfc1
	.section	.bss,"aw",@nobits
	.globl	__hip_cuid_92164fbd0fcecfc1
__hip_cuid_92164fbd0fcecfc1:
	.byte	0                               ; 0x0
	.size	__hip_cuid_92164fbd0fcecfc1, 1

	.ident	"AMD clang version 22.0.0git (https://github.com/RadeonOpenCompute/llvm-project roc-7.2.4 26084 f58b06dce1f9c15707c5f808fd002e18c2accf7e)"
	.section	".note.GNU-stack","",@progbits
	.addrsig
	.addrsig_sym __hip_cuid_92164fbd0fcecfc1
	.amdgpu_metadata
---
amdhsa.kernels:
  - .args:
      - .offset:         0
        .size:           1
        .value_kind:     by_value
      - .offset:         1
        .size:           1
        .value_kind:     by_value
      - .offset:         4
        .size:           4
        .value_kind:     by_value
      - .offset:         8
        .size:           8
        .value_kind:     by_value
      - .address_space:  global
        .offset:         16
        .size:           8
        .value_kind:     global_buffer
      - .offset:         24
        .size:           8
        .value_kind:     by_value
      - .offset:         32
        .size:           8
        .value_kind:     by_value
      - .offset:         40
        .size:           8
        .value_kind:     by_value
      - .address_space:  global
        .offset:         48
        .size:           8
        .value_kind:     global_buffer
      - .offset:         56
        .size:           8
        .value_kind:     by_value
      - .offset:         64
        .size:           8
        .value_kind:     by_value
      - .offset:         72
        .size:           8
        .value_kind:     by_value
      - .address_space:  global
        .offset:         80
        .size:           8
        .value_kind:     global_buffer
      - .offset:         88
        .size:           8
        .value_kind:     by_value
      - .offset:         96
        .size:           8
        .value_kind:     by_value
      - .offset:         104
        .size:           4
        .value_kind:     by_value
    .group_segment_fixed_size: 0
    .kernarg_segment_align: 8
    .kernarg_segment_size: 108
    .language:       OpenCL C
    .language_version:
      - 2
      - 0
    .max_flat_workgroup_size: 1024
    .name:           _ZL19rocblas_spr2_kernelILi128ELi8ELi2E24rocblas_internal_val_ptrIfEPKfPfEvbbiT2_T3_lllS6_lllT4_lli
    .private_segment_fixed_size: 0
    .sgpr_count:     46
    .sgpr_spill_count: 0
    .symbol:         _ZL19rocblas_spr2_kernelILi128ELi8ELi2E24rocblas_internal_val_ptrIfEPKfPfEvbbiT2_T3_lllS6_lllT4_lli.kd
    .uniform_work_group_size: 1
    .uses_dynamic_stack: false
    .vgpr_count:     16
    .vgpr_spill_count: 0
    .wavefront_size: 32
    .workgroup_processor_mode: 1
  - .args:
      - .offset:         0
        .size:           1
        .value_kind:     by_value
      - .offset:         1
        .size:           1
        .value_kind:     by_value
      - .offset:         4
        .size:           4
        .value_kind:     by_value
      - .offset:         8
        .size:           8
        .value_kind:     by_value
      - .address_space:  global
        .offset:         16
        .size:           8
        .value_kind:     global_buffer
      - .offset:         24
        .size:           8
        .value_kind:     by_value
      - .offset:         32
        .size:           8
        .value_kind:     by_value
      - .offset:         40
        .size:           8
        .value_kind:     by_value
      - .address_space:  global
        .offset:         48
        .size:           8
        .value_kind:     global_buffer
      - .offset:         56
        .size:           8
        .value_kind:     by_value
      - .offset:         64
        .size:           8
        .value_kind:     by_value
      - .offset:         72
        .size:           8
        .value_kind:     by_value
      - .address_space:  global
        .offset:         80
        .size:           8
        .value_kind:     global_buffer
      - .offset:         88
        .size:           8
        .value_kind:     by_value
      - .offset:         96
        .size:           8
        .value_kind:     by_value
      - .offset:         104
        .size:           4
        .value_kind:     by_value
    .group_segment_fixed_size: 0
    .kernarg_segment_align: 8
    .kernarg_segment_size: 108
    .language:       OpenCL C
    .language_version:
      - 2
      - 0
    .max_flat_workgroup_size: 1024
    .name:           _ZL19rocblas_spr2_kernelILi128ELi8ELi1E24rocblas_internal_val_ptrIdEPKdPdEvbbiT2_T3_lllS6_lllT4_lli
    .private_segment_fixed_size: 0
    .sgpr_count:     30
    .sgpr_spill_count: 0
    .symbol:         _ZL19rocblas_spr2_kernelILi128ELi8ELi1E24rocblas_internal_val_ptrIdEPKdPdEvbbiT2_T3_lllS6_lllT4_lli.kd
    .uniform_work_group_size: 1
    .uses_dynamic_stack: false
    .vgpr_count:     16
    .vgpr_spill_count: 0
    .wavefront_size: 32
    .workgroup_processor_mode: 1
  - .args:
      - .offset:         0
        .size:           1
        .value_kind:     by_value
      - .offset:         1
        .size:           1
        .value_kind:     by_value
      - .offset:         4
        .size:           4
        .value_kind:     by_value
      - .offset:         8
        .size:           8
        .value_kind:     by_value
      - .address_space:  global
        .offset:         16
        .size:           8
        .value_kind:     global_buffer
      - .offset:         24
        .size:           8
        .value_kind:     by_value
      - .offset:         32
        .size:           8
        .value_kind:     by_value
      - .offset:         40
        .size:           8
        .value_kind:     by_value
      - .address_space:  global
        .offset:         48
        .size:           8
        .value_kind:     global_buffer
      - .offset:         56
        .size:           8
        .value_kind:     by_value
      - .offset:         64
        .size:           8
        .value_kind:     by_value
      - .offset:         72
        .size:           8
        .value_kind:     by_value
      - .address_space:  global
        .offset:         80
        .size:           8
        .value_kind:     global_buffer
      - .offset:         88
        .size:           8
        .value_kind:     by_value
      - .offset:         96
        .size:           8
        .value_kind:     by_value
      - .offset:         104
        .size:           4
        .value_kind:     by_value
    .group_segment_fixed_size: 0
    .kernarg_segment_align: 8
    .kernarg_segment_size: 108
    .language:       OpenCL C
    .language_version:
      - 2
      - 0
    .max_flat_workgroup_size: 1024
    .name:           _ZL19rocblas_spr2_kernelILi128ELi8ELi2E24rocblas_internal_val_ptrIfEPKPKfPKPfEvbbiT2_T3_lllSA_lllT4_lli
    .private_segment_fixed_size: 0
    .sgpr_count:     27
    .sgpr_spill_count: 0
    .symbol:         _ZL19rocblas_spr2_kernelILi128ELi8ELi2E24rocblas_internal_val_ptrIfEPKPKfPKPfEvbbiT2_T3_lllSA_lllT4_lli.kd
    .uniform_work_group_size: 1
    .uses_dynamic_stack: false
    .vgpr_count:     16
    .vgpr_spill_count: 0
    .wavefront_size: 32
    .workgroup_processor_mode: 1
  - .args:
      - .offset:         0
        .size:           1
        .value_kind:     by_value
      - .offset:         1
        .size:           1
        .value_kind:     by_value
      - .offset:         4
        .size:           4
        .value_kind:     by_value
      - .offset:         8
        .size:           8
        .value_kind:     by_value
      - .address_space:  global
        .offset:         16
        .size:           8
        .value_kind:     global_buffer
      - .offset:         24
        .size:           8
        .value_kind:     by_value
      - .offset:         32
        .size:           8
        .value_kind:     by_value
      - .offset:         40
        .size:           8
        .value_kind:     by_value
      - .address_space:  global
        .offset:         48
        .size:           8
        .value_kind:     global_buffer
      - .offset:         56
        .size:           8
        .value_kind:     by_value
      - .offset:         64
        .size:           8
        .value_kind:     by_value
      - .offset:         72
        .size:           8
        .value_kind:     by_value
      - .address_space:  global
        .offset:         80
        .size:           8
        .value_kind:     global_buffer
      - .offset:         88
        .size:           8
        .value_kind:     by_value
      - .offset:         96
        .size:           8
        .value_kind:     by_value
      - .offset:         104
        .size:           4
        .value_kind:     by_value
    .group_segment_fixed_size: 0
    .kernarg_segment_align: 8
    .kernarg_segment_size: 108
    .language:       OpenCL C
    .language_version:
      - 2
      - 0
    .max_flat_workgroup_size: 1024
    .name:           _ZL19rocblas_spr2_kernelILi128ELi8ELi1E24rocblas_internal_val_ptrIdEPKPKdPKPdEvbbiT2_T3_lllSA_lllT4_lli
    .private_segment_fixed_size: 0
    .sgpr_count:     26
    .sgpr_spill_count: 0
    .symbol:         _ZL19rocblas_spr2_kernelILi128ELi8ELi1E24rocblas_internal_val_ptrIdEPKPKdPKPdEvbbiT2_T3_lllSA_lllT4_lli.kd
    .uniform_work_group_size: 1
    .uses_dynamic_stack: false
    .vgpr_count:     16
    .vgpr_spill_count: 0
    .wavefront_size: 32
    .workgroup_processor_mode: 1
amdhsa.target:   amdgcn-amd-amdhsa--gfx1030
amdhsa.version:
  - 1
  - 2
...

	.end_amdgpu_metadata
